;; amdgpu-corpus repo=zjin-lcf/HeCBench kind=compiled arch=gfx1030 opt=O3
	.amdgcn_target "amdgcn-amd-amdhsa--gfx1030"
	.amdhsa_code_object_version 6
	.text
	.protected	_Z19kernel_gpupcg_setupPmS_imm ; -- Begin function _Z19kernel_gpupcg_setupPmS_imm
	.globl	_Z19kernel_gpupcg_setupPmS_imm
	.p2align	8
	.type	_Z19kernel_gpupcg_setupPmS_imm,@function
_Z19kernel_gpupcg_setupPmS_imm:         ; @_Z19kernel_gpupcg_setupPmS_imm
; %bb.0:
	s_clause 0x1
	s_load_dword s0, s[4:5], 0x34
	s_load_dword s1, s[4:5], 0x10
	s_waitcnt lgkmcnt(0)
	s_and_b32 s0, s0, 0xffff
	v_mad_u64_u32 v[0:1], null, s6, s0, v[0:1]
	s_mov_b32 s0, exec_lo
	v_cmpx_gt_i32_e64 s1, v0
	s_cbranch_execz .LBB0_2
; %bb.1:
	s_load_dwordx4 s[0:3], s[4:5], 0x18
	v_ashrrev_i32_e32 v1, 31, v0
	v_mov_b32_e32 v2, 0
	v_lshlrev_b64 v[4:5], 3, v[0:1]
	v_mov_b32_e32 v3, v2
	s_waitcnt lgkmcnt(0)
	s_mul_i32 s6, s2, 0xc6a4a793
	s_mul_hi_u32 s7, s2, 0x5bd1e995
	s_mul_i32 s3, s3, 0x5bd1e995
	s_add_i32 s6, s7, s6
	s_mul_i32 s2, s2, 0x5bd1e995
	s_add_i32 s3, s6, s3
	s_load_dwordx4 s[4:7], s[4:5], 0x0
	s_lshr_b32 s8, s3, 15
	s_mul_i32 s3, s3, 0x5bd1e995
	s_xor_b32 s2, s8, s2
	s_mul_i32 s8, s2, 0xc6a4a793
	s_mul_hi_u32 s9, s2, 0x5bd1e995
	s_mul_i32 s2, s2, 0x5bd1e995
	s_add_i32 s8, s9, s8
	s_xor_b32 s2, s2, 0xde8f4c87
	s_add_i32 s8, s8, s3
	s_mul_i32 s3, s2, 0xc6a4a793
	s_mul_hi_u32 s9, s2, 0x5bd1e995
	s_xor_b32 s8, s8, 0x35253c9a
	s_add_i32 s3, s9, s3
	s_mul_i32 s8, s8, 0x5bd1e995
	s_mul_i32 s2, s2, 0x5bd1e995
	s_add_i32 s8, s3, s8
	s_mov_b32 s3, 0
	s_lshr_b32 s9, s8, 15
	s_mul_i32 s8, s8, 0x5bd1e995
	s_xor_b32 s2, s9, s2
	s_waitcnt lgkmcnt(0)
	v_add_co_u32 v6, vcc_lo, s4, v4
	s_mul_i32 s9, s2, 0xc6a4a793
	s_mul_hi_u32 s10, s2, 0x5bd1e995
	v_add_co_ci_u32_e64 v7, null, s5, v5, vcc_lo
	s_add_i32 s9, s10, s9
	v_add_co_u32 v4, vcc_lo, s6, v4
	s_add_i32 s9, s9, s8
	s_mul_i32 s8, s2, 0x5bd1e995
	s_lshr_b32 s2, s9, 15
	v_add_co_ci_u32_e64 v5, null, s7, v5, vcc_lo
	s_xor_b64 s[2:3], s[2:3], s[8:9]
	v_add_co_u32 v0, vcc_lo, s0, v0
	s_lshl_b64 s[2:3], s[2:3], 1
	v_add_co_ci_u32_e64 v1, null, s1, v1, vcc_lo
	s_or_b32 s2, s2, 1
	v_mov_b32_e32 v9, s3
	v_mov_b32_e32 v8, s2
	global_store_dwordx2 v[6:7], v[2:3], off
	global_store_dwordx2 v[4:5], v[8:9], off
	global_load_dwordx2 v[2:3], v[6:7], off
	v_mul_lo_u32 v8, 0x5bd1e995, v1
	v_mul_lo_u32 v9, 0xc6a4a793, v0
	v_mad_u64_u32 v[0:1], null, 0x5bd1e995, v0, 0
	v_add3_u32 v1, v1, v9, v8
	v_lshrrev_b32_e32 v8, 15, v1
	v_xor_b32_e32 v0, v8, v0
	v_mul_lo_u32 v8, 0x5bd1e995, v1
	v_mul_lo_u32 v9, 0xc6a4a793, v0
	v_mad_u64_u32 v[0:1], null, 0x5bd1e995, v0, 0
	v_add3_u32 v1, v1, v9, v8
	v_xor_b32_e32 v0, 0xde8f4cb9, v0
	v_xor_b32_e32 v8, 0x35253c9a, v1
	v_mul_lo_u32 v9, 0xc6a4a793, v0
	v_mad_u64_u32 v[0:1], null, 0x5bd1e995, v0, 0
	v_mul_lo_u32 v8, 0x5bd1e995, v8
	v_add3_u32 v1, v1, v9, v8
	v_lshrrev_b32_e32 v8, 15, v1
	v_xor_b32_e32 v0, v8, v0
	v_mul_lo_u32 v8, 0x5bd1e995, v1
	v_mul_lo_u32 v9, 0xc6a4a793, v0
	v_mad_u64_u32 v[0:1], null, 0x5bd1e995, v0, 0
	v_add3_u32 v1, v1, v9, v8
	v_lshrrev_b32_e32 v8, 15, v1
	v_xor_b32_e32 v0, v8, v0
	v_add_co_u32 v0, vcc_lo, v0, s2
	v_add_co_ci_u32_e64 v1, null, s3, v1, vcc_lo
	s_waitcnt vmcnt(0)
	v_mad_u64_u32 v[0:1], null, 0x4c957f2d, v2, v[0:1]
	v_mul_lo_u32 v2, 0x5851f42d, v2
	v_mul_lo_u32 v3, 0x4c957f2d, v3
	v_add3_u32 v1, v3, v1, v2
	global_store_dwordx2 v[6:7], v[0:1], off
	global_load_dwordx2 v[2:3], v[4:5], off
	v_mul_lo_u32 v4, 0x5851f42d, v0
	v_mul_lo_u32 v5, 0x4c957f2d, v1
	s_waitcnt vmcnt(0)
	v_mad_u64_u32 v[0:1], null, 0x4c957f2d, v0, v[2:3]
	v_add3_u32 v1, v5, v1, v4
	global_store_dwordx2 v[6:7], v[0:1], off
.LBB0_2:
	s_endpgm
	.section	.rodata,"a",@progbits
	.p2align	6, 0x0
	.amdhsa_kernel _Z19kernel_gpupcg_setupPmS_imm
		.amdhsa_group_segment_fixed_size 0
		.amdhsa_private_segment_fixed_size 0
		.amdhsa_kernarg_size 296
		.amdhsa_user_sgpr_count 6
		.amdhsa_user_sgpr_private_segment_buffer 1
		.amdhsa_user_sgpr_dispatch_ptr 0
		.amdhsa_user_sgpr_queue_ptr 0
		.amdhsa_user_sgpr_kernarg_segment_ptr 1
		.amdhsa_user_sgpr_dispatch_id 0
		.amdhsa_user_sgpr_flat_scratch_init 0
		.amdhsa_user_sgpr_private_segment_size 0
		.amdhsa_wavefront_size32 1
		.amdhsa_uses_dynamic_stack 0
		.amdhsa_system_sgpr_private_segment_wavefront_offset 0
		.amdhsa_system_sgpr_workgroup_id_x 1
		.amdhsa_system_sgpr_workgroup_id_y 0
		.amdhsa_system_sgpr_workgroup_id_z 0
		.amdhsa_system_sgpr_workgroup_info 0
		.amdhsa_system_vgpr_workitem_id 0
		.amdhsa_next_free_vgpr 10
		.amdhsa_next_free_sgpr 11
		.amdhsa_reserve_vcc 1
		.amdhsa_reserve_flat_scratch 0
		.amdhsa_float_round_mode_32 0
		.amdhsa_float_round_mode_16_64 0
		.amdhsa_float_denorm_mode_32 3
		.amdhsa_float_denorm_mode_16_64 3
		.amdhsa_dx10_clamp 1
		.amdhsa_ieee_mode 1
		.amdhsa_fp16_overflow 0
		.amdhsa_workgroup_processor_mode 1
		.amdhsa_memory_ordered 1
		.amdhsa_forward_progress 1
		.amdhsa_shared_vgpr_count 0
		.amdhsa_exception_fp_ieee_invalid_op 0
		.amdhsa_exception_fp_denorm_src 0
		.amdhsa_exception_fp_ieee_div_zero 0
		.amdhsa_exception_fp_ieee_overflow 0
		.amdhsa_exception_fp_ieee_underflow 0
		.amdhsa_exception_fp_ieee_inexact 0
		.amdhsa_exception_int_div_zero 0
	.end_amdhsa_kernel
	.text
.Lfunc_end0:
	.size	_Z19kernel_gpupcg_setupPmS_imm, .Lfunc_end0-_Z19kernel_gpupcg_setupPmS_imm
                                        ; -- End function
	.set _Z19kernel_gpupcg_setupPmS_imm.num_vgpr, 10
	.set _Z19kernel_gpupcg_setupPmS_imm.num_agpr, 0
	.set _Z19kernel_gpupcg_setupPmS_imm.numbered_sgpr, 11
	.set _Z19kernel_gpupcg_setupPmS_imm.num_named_barrier, 0
	.set _Z19kernel_gpupcg_setupPmS_imm.private_seg_size, 0
	.set _Z19kernel_gpupcg_setupPmS_imm.uses_vcc, 1
	.set _Z19kernel_gpupcg_setupPmS_imm.uses_flat_scratch, 0
	.set _Z19kernel_gpupcg_setupPmS_imm.has_dyn_sized_stack, 0
	.set _Z19kernel_gpupcg_setupPmS_imm.has_recursion, 0
	.set _Z19kernel_gpupcg_setupPmS_imm.has_indirect_call, 0
	.section	.AMDGPU.csdata,"",@progbits
; Kernel info:
; codeLenInByte = 748
; TotalNumSgprs: 13
; NumVgprs: 10
; ScratchSize: 0
; MemoryBound: 0
; FloatMode: 240
; IeeeMode: 1
; LDSByteSize: 0 bytes/workgroup (compile time only)
; SGPRBlocks: 0
; VGPRBlocks: 1
; NumSGPRsForWavesPerEU: 13
; NumVGPRsForWavesPerEU: 10
; Occupancy: 16
; WaveLimiterHint : 0
; COMPUTE_PGM_RSRC2:SCRATCH_EN: 0
; COMPUTE_PGM_RSRC2:USER_SGPR: 6
; COMPUTE_PGM_RSRC2:TRAP_HANDLER: 0
; COMPUTE_PGM_RSRC2:TGID_X_EN: 1
; COMPUTE_PGM_RSRC2:TGID_Y_EN: 0
; COMPUTE_PGM_RSRC2:TGID_Z_EN: 0
; COMPUTE_PGM_RSRC2:TIDIG_COMP_CNT: 0
	.text
	.protected	_Z17kernel_metropolisiiPiPKiffPmS2_i ; -- Begin function _Z17kernel_metropolisiiPiPKiffPmS2_i
	.globl	_Z17kernel_metropolisiiPiPKiffPmS2_i
	.p2align	8
	.type	_Z17kernel_metropolisiiPiPKiffPmS2_i,@function
_Z17kernel_metropolisiiPiPKiffPmS2_i:   ; @_Z17kernel_metropolisiiPiPKiffPmS2_i
; %bb.0:
	s_clause 0x2
	s_load_dword s11, s[4:5], 0x30
	s_load_dword s9, s[4:5], 0x4
	s_load_dwordx4 s[0:3], s[4:5], 0x8
	s_add_i32 s12, s6, s8
	s_lshl_b32 s10, s8, 2
	v_lshlrev_b32_e32 v17, 1, v1
	v_add_nc_u32_e32 v3, s10, v2
	s_lshl_b32 s13, s7, 4
	v_mul_u32_u24_e32 v19, 0xb4, v2
	v_mul_u32_u24_e32 v22, 36, v1
	v_lshlrev_b32_e32 v16, 2, v19
	v_lshl_add_u32 v23, v22, 2, v16
	s_waitcnt lgkmcnt(0)
	s_add_i32 s12, s12, s11
	v_mul_lo_u32 v9, s9, v3
	s_lshl_b32 s11, s12, 3
	v_lshl_add_u32 v15, v0, 2, v23
	s_and_b32 s11, s11, 8
	s_or_b32 s12, s11, s13
	s_lshl_b32 s11, s6, 4
	v_add_nc_u32_e32 v3, s12, v17
	v_mul_lo_u32 v18, v9, s9
	v_add_nc_u32_e32 v7, s11, v0
	v_or_b32_e32 v4, 1, v3
	v_mul_lo_u32 v21, v3, s9
	v_mul_lo_u32 v20, v4, s9
	v_add_nc_u32_e32 v10, v21, v18
	v_add_nc_u32_e32 v8, v20, v18
	;; [unrolled: 1-line block ×4, first 2 shown]
	v_ashrrev_i32_e32 v4, 31, v3
	v_ashrrev_i32_e32 v6, 31, v5
	v_lshlrev_b64 v[13:14], 2, v[3:4]
	v_lshlrev_b64 v[11:12], 2, v[5:6]
	v_add_co_u32 v3, vcc_lo, s0, v13
	v_add_co_ci_u32_e64 v4, null, s1, v14, vcc_lo
	v_add_co_u32 v5, vcc_lo, s0, v11
	v_add_co_ci_u32_e64 v6, null, s1, v12, vcc_lo
	v_add_co_u32 v13, vcc_lo, s2, v13
	s_clause 0x1
	global_load_dword v24, v[3:4], off
	global_load_dword v25, v[5:6], off
	v_add_co_ci_u32_e64 v14, null, s3, v14, vcc_lo
	v_add_co_u32 v11, vcc_lo, s2, v11
	v_add_co_ci_u32_e64 v12, null, s3, v12, vcc_lo
	s_mov_b32 s2, 0
	s_mov_b32 s3, exec_lo
	s_waitcnt vmcnt(0)
	ds_write2_b32 v15, v24, v25 offset0:199 offset1:217
	s_clause 0x1
	global_load_dword v13, v[13:14], off
	global_load_dword v12, v[11:12], off
                                        ; implicit-def: $vgpr14
                                        ; implicit-def: $vgpr11
	v_cmpx_lt_i32_e32 2, v1
	s_xor_b32 s3, exec_lo, s3
	s_cbranch_execnz .LBB1_31
; %bb.1:
	s_andn2_saveexec_b32 s3, s3
	s_cbranch_execnz .LBB1_34
.LBB1_2:
	s_or_b32 exec_lo, exec_lo, s3
	s_and_saveexec_b32 s3, s2
	s_cbranch_execz .LBB1_4
.LBB1_3:
	v_add_nc_u32_e32 v24, v14, v7
	v_lshl_add_u32 v11, v0, 2, v11
	v_ashrrev_i32_e32 v25, 31, v24
	v_lshlrev_b64 v[24:25], 2, v[24:25]
	v_add_co_u32 v24, vcc_lo, s0, v24
	v_add_co_ci_u32_e64 v25, null, s1, v25, vcc_lo
	global_load_dword v9, v[24:25], off
	s_waitcnt vmcnt(0)
	ds_write_b32 v11, v9 offset:4
.LBB1_4:
	s_or_b32 exec_lo, exec_lo, s3
	s_mov_b32 s2, exec_lo
	v_cmpx_lt_i32_e32 14, v0
	s_xor_b32 s2, exec_lo, s2
	s_cbranch_execz .LBB1_11
; %bb.5:
	s_mov_b32 s3, exec_lo
	v_cmpx_eq_u32_e32 15, v0
	s_cbranch_execz .LBB1_10
; %bb.6:
	s_load_dword s12, s[4:5], 0x38
	s_waitcnt lgkmcnt(0)
	s_add_i32 s12, s12, -1
	s_cmp_lg_u32 s6, s12
	s_mov_b32 s12, -1
	s_cbranch_scc0 .LBB1_8
; %bb.7:
	v_ashrrev_i32_e32 v9, 31, v10
	v_ashrrev_i32_e32 v11, 31, v8
	s_ashr_i32 s12, s11, 31
	v_add_co_u32 v24, vcc_lo, v10, s11
	v_add_co_ci_u32_e64 v25, null, s12, v9, vcc_lo
	v_add_co_u32 v26, vcc_lo, v8, s11
	v_add_co_ci_u32_e64 v27, null, s12, v11, vcc_lo
	v_lshlrev_b64 v[24:25], 2, v[24:25]
	s_mov_b32 s12, 0
	v_lshlrev_b64 v[26:27], 2, v[26:27]
	v_add_co_u32 v24, vcc_lo, s0, v24
	v_add_co_ci_u32_e64 v25, null, s1, v25, vcc_lo
	v_add_co_u32 v26, vcc_lo, s0, v26
	v_add_co_ci_u32_e64 v27, null, s1, v27, vcc_lo
	s_clause 0x1
	global_load_dword v9, v[24:25], off offset:64
	global_load_dword v11, v[26:27], off offset:64
	s_waitcnt vmcnt(0)
	ds_write2_b32 v23, v9, v11 offset0:215 offset1:233
.LBB1_8:
	s_andn2_b32 vcc_lo, exec_lo, s12
	s_cbranch_vccnz .LBB1_10
; %bb.9:
	v_ashrrev_i32_e32 v11, 31, v10
	v_ashrrev_i32_e32 v9, 31, v8
	v_lshlrev_b64 v[10:11], 2, v[10:11]
	v_lshlrev_b64 v[8:9], 2, v[8:9]
	v_add_co_u32 v10, vcc_lo, s0, v10
	v_add_co_ci_u32_e64 v11, null, s1, v11, vcc_lo
	v_add_co_u32 v8, vcc_lo, s0, v8
	v_add_co_ci_u32_e64 v9, null, s1, v9, vcc_lo
	s_clause 0x1
	global_load_dword v10, v[10:11], off
	global_load_dword v8, v[8:9], off
	s_waitcnt vmcnt(0)
	ds_write2_b32 v23, v10, v8 offset0:215 offset1:233
.LBB1_10:
	s_or_b32 exec_lo, exec_lo, s3
                                        ; implicit-def: $vgpr10
                                        ; implicit-def: $vgpr8
                                        ; implicit-def: $vgpr23
.LBB1_11:
	s_andn2_saveexec_b32 s2, s2
	s_cbranch_execz .LBB1_17
; %bb.12:
	s_mov_b32 s3, exec_lo
	v_cmpx_eq_u32_e32 0, v0
	s_cbranch_execz .LBB1_16
; %bb.13:
	v_ashrrev_i32_e32 v11, 31, v10
	v_ashrrev_i32_e32 v9, 31, v8
	s_cmp_lg_u32 s6, 0
	s_cbranch_scc0 .LBB1_37
; %bb.14:
	s_ashr_i32 s6, s11, 31
	v_add_co_u32 v24, vcc_lo, v10, s11
	v_add_co_ci_u32_e64 v25, null, s6, v11, vcc_lo
	v_add_co_u32 v26, vcc_lo, v8, s11
	v_add_co_ci_u32_e64 v27, null, s6, v9, vcc_lo
	v_lshlrev_b64 v[24:25], 2, v[24:25]
	v_lshlrev_b64 v[26:27], 2, v[26:27]
	v_add_co_u32 v24, vcc_lo, s0, v24
	v_add_co_ci_u32_e64 v25, null, s1, v25, vcc_lo
	v_add_co_u32 v26, vcc_lo, s0, v26
	v_add_co_ci_u32_e64 v27, null, s1, v27, vcc_lo
	s_clause 0x1
	global_load_dword v14, v[24:25], off offset:-4
	global_load_dword v24, v[26:27], off offset:-4
	s_waitcnt vmcnt(0)
	ds_write2_b32 v23, v14, v24 offset0:198 offset1:216
	s_cbranch_execnz .LBB1_16
.LBB1_15:
	s_ashr_i32 s6, s9, 31
	v_add_co_u32 v10, vcc_lo, v10, s9
	v_add_co_ci_u32_e64 v11, null, s6, v11, vcc_lo
	v_add_co_u32 v8, vcc_lo, v8, s9
	v_add_co_ci_u32_e64 v9, null, s6, v9, vcc_lo
	v_lshlrev_b64 v[10:11], 2, v[10:11]
	v_lshlrev_b64 v[8:9], 2, v[8:9]
	v_add_co_u32 v10, vcc_lo, s0, v10
	v_add_co_ci_u32_e64 v11, null, s1, v11, vcc_lo
	v_add_co_u32 v8, vcc_lo, s0, v8
	v_add_co_ci_u32_e64 v9, null, s1, v9, vcc_lo
	s_clause 0x1
	global_load_dword v10, v[10:11], off offset:-4
	global_load_dword v8, v[8:9], off offset:-4
	s_waitcnt vmcnt(0)
	ds_write2_b32 v23, v10, v8 offset0:198 offset1:216
.LBB1_16:
	s_or_b32 exec_lo, exec_lo, s3
.LBB1_17:
	s_or_b32 exec_lo, exec_lo, s2
	s_mov_b32 s2, exec_lo
	v_cmpx_lt_i32_e32 2, v2
	s_xor_b32 s2, exec_lo, s2
	s_cbranch_execz .LBB1_24
; %bb.18:
	s_mov_b32 s3, exec_lo
	v_cmpx_eq_u32_e32 3, v2
	s_cbranch_execz .LBB1_23
; %bb.19:
	s_load_dword s6, s[4:5], 0x40
	s_waitcnt lgkmcnt(0)
	s_add_i32 s6, s6, -1
	s_cmp_lg_u32 s8, s6
	s_mov_b32 s6, -1
	s_cbranch_scc0 .LBB1_21
; %bb.20:
	s_add_i32 s6, s10, 4
	s_mul_i32 s11, s9, s9
	v_mad_u64_u32 v[8:9], null, s11, s6, v[7:8]
	s_mov_b32 s6, 0
	v_add_nc_u32_e32 v9, v8, v21
	v_add_nc_u32_e32 v23, v8, v20
	v_ashrrev_i32_e32 v10, 31, v9
	v_ashrrev_i32_e32 v24, 31, v23
	v_lshlrev_b64 v[8:9], 2, v[9:10]
	v_lshlrev_b64 v[10:11], 2, v[23:24]
	v_add_co_u32 v8, vcc_lo, s0, v8
	v_add_co_ci_u32_e64 v9, null, s1, v9, vcc_lo
	v_add_co_u32 v10, vcc_lo, s0, v10
	v_add_co_ci_u32_e64 v11, null, s1, v11, vcc_lo
	s_clause 0x1
	global_load_dword v8, v[8:9], off
	global_load_dword v9, v[10:11], off
	v_lshlrev_b32_e32 v10, 2, v0
	v_lshl_add_u32 v10, v22, 2, v10
	v_add_nc_u32_e32 v10, 0xc00, v10
	s_waitcnt vmcnt(0)
	ds_write2_b32 v10, v8, v9 offset0:151 offset1:169
.LBB1_21:
	s_andn2_b32 vcc_lo, exec_lo, s6
	s_cbranch_vccnz .LBB1_23
; %bb.22:
	v_add_nc_u32_e32 v8, v21, v7
	v_add_nc_u32_e32 v10, v20, v7
	v_ashrrev_i32_e32 v9, 31, v8
	v_ashrrev_i32_e32 v11, 31, v10
	v_lshlrev_b64 v[8:9], 2, v[8:9]
	v_lshlrev_b64 v[10:11], 2, v[10:11]
	v_add_co_u32 v8, vcc_lo, s0, v8
	v_add_co_ci_u32_e64 v9, null, s1, v9, vcc_lo
	v_add_co_u32 v10, vcc_lo, s0, v10
	v_add_co_ci_u32_e64 v11, null, s1, v11, vcc_lo
	s_clause 0x1
	global_load_dword v8, v[8:9], off
	global_load_dword v9, v[10:11], off
	v_lshlrev_b32_e32 v10, 2, v0
	v_lshl_add_u32 v10, v22, 2, v10
	v_add_nc_u32_e32 v10, 0xc00, v10
	s_waitcnt vmcnt(0)
	ds_write2_b32 v10, v8, v9 offset0:151 offset1:169
.LBB1_23:
	s_or_b32 exec_lo, exec_lo, s3
                                        ; implicit-def: $vgpr21
                                        ; implicit-def: $vgpr20
                                        ; implicit-def: $vgpr22
.LBB1_24:
	s_andn2_saveexec_b32 s2, s2
	s_cbranch_execz .LBB1_30
; %bb.25:
	s_mov_b32 s3, exec_lo
	v_cmpx_eq_u32_e32 0, v2
	s_cbranch_execz .LBB1_29
; %bb.26:
	v_lshlrev_b32_e32 v8, 2, v0
	s_cmp_lg_u32 s8, 0
	s_mul_i32 s6, s9, s9
	v_lshl_add_u32 v8, v22, 2, v8
	s_cbranch_scc0 .LBB1_38
; %bb.27:
	s_add_i32 s10, s10, -1
	v_mad_u64_u32 v[9:10], null, s6, s10, v[7:8]
	v_add_nc_u32_e32 v10, v9, v21
	v_add_nc_u32_e32 v22, v9, v20
	v_ashrrev_i32_e32 v11, 31, v10
	v_ashrrev_i32_e32 v23, 31, v22
	v_lshlrev_b64 v[9:10], 2, v[10:11]
	v_lshlrev_b64 v[22:23], 2, v[22:23]
	v_add_co_u32 v9, vcc_lo, s0, v9
	v_add_co_ci_u32_e64 v10, null, s1, v10, vcc_lo
	v_add_co_u32 v22, vcc_lo, s0, v22
	v_add_co_ci_u32_e64 v23, null, s1, v23, vcc_lo
	s_clause 0x1
	global_load_dword v9, v[9:10], off
	global_load_dword v10, v[22:23], off
	s_waitcnt vmcnt(0)
	ds_write2_b32 v8, v9, v10 offset0:19 offset1:37
	s_cbranch_execnz .LBB1_29
.LBB1_28:
	s_add_i32 s8, s9, -1
	v_mad_u64_u32 v[9:10], null, s6, s8, v[7:8]
	v_add_nc_u32_e32 v10, v9, v21
	v_add_nc_u32_e32 v20, v9, v20
	v_ashrrev_i32_e32 v11, 31, v10
	v_ashrrev_i32_e32 v21, 31, v20
	v_lshlrev_b64 v[9:10], 2, v[10:11]
	v_lshlrev_b64 v[20:21], 2, v[20:21]
	v_add_co_u32 v9, vcc_lo, s0, v9
	v_add_co_ci_u32_e64 v10, null, s1, v10, vcc_lo
	v_add_co_u32 v20, vcc_lo, s0, v20
	v_add_co_ci_u32_e64 v21, null, s1, v21, vcc_lo
	s_clause 0x1
	global_load_dword v9, v[9:10], off
	global_load_dword v10, v[20:21], off
	s_waitcnt vmcnt(0)
	ds_write2_b32 v8, v9, v10 offset0:19 offset1:37
.LBB1_29:
	s_or_b32 exec_lo, exec_lo, s3
.LBB1_30:
	s_or_b32 exec_lo, exec_lo, s2
	v_ashrrev_i32_e32 v8, 31, v18
	s_lshl_b32 s0, s7, 2
	v_add_nc_u32_e32 v11, 0xb4, v19
	s_and_b32 s0, s0, 0x7ffffffc
	v_lshlrev_b32_e32 v14, 2, v0
	v_lshrrev_b32_e32 v8, 30, v8
	v_add_nc_u32_e32 v1, s0, v1
	s_load_dwordx4 s[0:3], s[4:5], 0x20
	s_waitcnt vmcnt(1)
	v_cvt_f32_i32_e32 v13, v13
	v_add_nc_u32_e32 v8, v18, v8
	v_mul_lo_u32 v1, v1, s9
	v_ashrrev_i32_e32 v8, 2, v8
	v_add3_u32 v7, v1, v7, v8
	v_add_nc_u32_e32 v1, v0, v2
	v_ashrrev_i32_e32 v8, 31, v7
	v_and_or_b32 v2, v1, 1, v17
	v_lshlrev_b64 v[7:8], 3, v[7:8]
	v_mul_u32_u24_e32 v1, 18, v2
	v_lshlrev_b32_e32 v0, 2, v1
	s_waitcnt lgkmcnt(0)
	v_add_co_u32 v9, vcc_lo, s0, v7
	v_add_co_ci_u32_e64 v10, null, s1, v8, vcc_lo
	v_add_co_u32 v7, vcc_lo, s2, v7
	v_add_co_ci_u32_e64 v8, null, s3, v8, vcc_lo
	global_load_dwordx2 v[20:21], v[9:10], off
	v_mad_u32_u24 v1, v2, 18, v11
	v_add3_u32 v17, v16, v0, v14
	global_load_dwordx2 v[22:23], v[7:8], off
	s_waitcnt vmcnt(0)
	s_barrier
	v_lshl_add_u32 v19, v1, 2, v14
	v_add_nc_u32_e32 v24, 0x200, v17
	buffer_gl0_inv
	ds_read2_b32 v[0:1], v19 offset0:18 offset1:19
	ds_read_b32 v26, v19 offset:80
	ds_read2_b32 v[17:18], v17 offset0:19 offset1:181
	ds_read2_b32 v[24:25], v24 offset0:89 offset1:251
	s_load_dwordx2 s[0:1], s[4:5], 0x18
	v_xor_b32_e32 v2, 1, v2
	s_waitcnt lgkmcnt(0)
	v_add_nc_u32_e32 v0, v26, v0
	v_add3_u32 v0, v0, v18, v24
	v_add3_u32 v0, v0, v17, v25
	v_cvt_f32_i32_e32 v17, v1
	v_cvt_f32_i32_e32 v0, v0
	v_fmac_f32_e32 v0, s0, v13
	v_mul_f32_e32 v13, v0, v17
	v_fmaak_f32 v0, v0, v17, 0xad2febff
	v_mul_f32_e32 v13, s1, v13
	v_mul_f32_e32 v18, 0x3fb8aa3b, v13
	v_cmp_ngt_f32_e32 vcc_lo, 0xc2ce8ed0, v13
	v_fma_f32 v24, 0x3fb8aa3b, v13, -v18
	v_rndne_f32_e32 v25, v18
	v_fmac_f32_e32 v24, 0x32a5705f, v13
	v_sub_f32_e32 v18, v18, v25
	v_add_f32_e32 v18, v18, v24
	v_cvt_i32_f32_e32 v24, v25
	v_exp_f32_e32 v18, v18
	v_ldexp_f32 v18, v18, v24
	v_cndmask_b32_e32 v18, 0, v18, vcc_lo
	v_cmp_nlt_f32_e32 vcc_lo, 0x42b17218, v13
	v_cndmask_b32_e32 v13, 0x7f800000, v18, vcc_lo
	v_lshrrev_b32_e32 v25, 13, v21
	v_alignbit_b32 v26, v21, v20, 27
	v_lshrrev_b32_e32 v24, 27, v21
	v_xor_b32_e32 v25, v25, v26
	v_alignbit_b32 v24, v25, v25, v24
	v_cvt_f32_u32_e32 v18, v24
	v_mul_u32_u24_e32 v24, 18, v2
	v_mad_u32_u24 v2, v2, 18, v11
	v_fma_f32 v13, 0x2f800000, v18, -v13
	v_lshlrev_b32_e32 v17, 2, v24
	v_lshl_add_u32 v2, v2, 2, v14
	v_or_b32_e32 v0, v13, v0
	v_sub_nc_u32_e32 v13, 0, v1
	v_add3_u32 v11, v16, v17, v14
	v_cmp_gt_i32_e32 vcc_lo, 0, v0
	v_add_nc_u32_e32 v16, 0x200, v11
	v_cndmask_b32_e32 v0, v1, v13, vcc_lo
	ds_write_b32 v19, v0 offset:76
	s_waitcnt lgkmcnt(0)
	s_barrier
	buffer_gl0_inv
	ds_read2_b32 v[0:1], v2 offset0:18 offset1:19
	ds_read_b32 v18, v2 offset:80
	ds_read2_b32 v[13:14], v11 offset0:19 offset1:181
	ds_read2_b32 v[16:17], v16 offset0:89 offset1:251
	v_cvt_f32_i32_e32 v11, v12
	v_mul_lo_u32 v19, 0x5851f42d, v20
	s_waitcnt lgkmcnt(2)
	v_add_nc_u32_e32 v0, v18, v0
	s_waitcnt lgkmcnt(0)
	v_add3_u32 v0, v0, v14, v16
	v_add3_u32 v0, v0, v13, v17
	v_cvt_f32_i32_e32 v13, v1
	v_cvt_f32_i32_e32 v0, v0
	v_fmac_f32_e32 v0, s0, v11
	v_mul_f32_e32 v11, v0, v13
	v_fmaak_f32 v0, v0, v13, 0xad2febff
	v_mul_f32_e32 v14, s1, v11
	v_mad_u64_u32 v[11:12], null, 0x4c957f2d, v20, v[22:23]
	v_mul_lo_u32 v20, 0x4c957f2d, v21
	v_mul_f32_e32 v16, 0x3fb8aa3b, v14
	v_cmp_ngt_f32_e32 vcc_lo, 0xc2ce8ed0, v14
	v_fma_f32 v17, 0x3fb8aa3b, v14, -v16
	v_rndne_f32_e32 v18, v16
	v_fmac_f32_e32 v17, 0x32a5705f, v14
	v_sub_f32_e32 v16, v16, v18
	v_cvt_i32_f32_e32 v18, v18
	v_add_f32_e32 v16, v16, v17
	v_add3_u32 v17, v20, v12, v19
	v_exp_f32_e32 v12, v16
	v_lshrrev_b32_e32 v16, 13, v17
	v_alignbit_b32 v19, v17, v11, 27
	v_lshrrev_b32_e32 v20, 27, v17
	v_mul_lo_u32 v13, 0x4c957f2d, v17
	v_xor_b32_e32 v16, v16, v19
	v_ldexp_f32 v12, v12, v18
	v_alignbit_b32 v16, v16, v16, v20
	v_cndmask_b32_e32 v12, 0, v12, vcc_lo
	v_cmp_nlt_f32_e32 vcc_lo, 0x42b17218, v14
	v_cvt_f32_u32_e32 v16, v16
	v_cndmask_b32_e32 v12, 0x7f800000, v12, vcc_lo
	v_fma_f32 v12, 0x2f800000, v16, -v12
	v_or_b32_e32 v0, v12, v0
	v_sub_nc_u32_e32 v12, 0, v1
	v_cmp_gt_i32_e32 vcc_lo, 0, v0
	v_cndmask_b32_e32 v0, v1, v12, vcc_lo
	ds_write_b32 v2, v0 offset:76
	s_waitcnt lgkmcnt(0)
	s_barrier
	buffer_gl0_inv
	ds_read2_b32 v[0:1], v15 offset0:199 offset1:217
	v_mul_lo_u32 v2, 0x5851f42d, v11
	v_mad_u64_u32 v[11:12], null, 0x4c957f2d, v11, v[22:23]
	v_add3_u32 v12, v13, v12, v2
	global_store_dwordx2 v[9:10], v[11:12], off
	s_waitcnt lgkmcnt(0)
	global_store_dword v[3:4], v0, off
	global_store_dword v[5:6], v1, off
	global_store_dwordx2 v[7:8], v[22:23], off
	s_endpgm
.LBB1_31:
	s_mov_b32 s13, exec_lo
                                        ; implicit-def: $vgpr14
                                        ; implicit-def: $vgpr11
	v_cmpx_eq_u32_e32 3, v1
; %bb.32:
	v_add3_u32 v9, v9, s12, 8
	s_add_i32 s14, s9, -8
	s_mov_b32 s2, exec_lo
	s_cmp_eq_u32 s12, s14
	v_add_nc_u32_e32 v11, 0x558, v16
	v_mul_lo_u32 v9, v9, s9
	s_cselect_b32 vcc_lo, -1, 0
	v_cndmask_b32_e32 v14, v9, v18, vcc_lo
; %bb.33:
	s_or_b32 exec_lo, exec_lo, s13
	s_and_b32 s2, s2, exec_lo
                                        ; implicit-def: $vgpr9
	s_andn2_saveexec_b32 s3, s3
	s_cbranch_execz .LBB1_2
.LBB1_34:
	s_mov_b32 s13, s2
	s_mov_b32 s14, exec_lo
                                        ; implicit-def: $vgpr14
                                        ; implicit-def: $vgpr11
	v_cmpx_eq_u32_e32 0, v1
; %bb.35:
	s_cmp_eq_u32 s12, 0
	v_add_nc_u32_e32 v11, 0x2d0, v16
	s_cselect_b32 s12, s9, s12
	s_or_b32 s13, s2, exec_lo
	v_add3_u32 v9, v9, s12, -1
	v_mul_lo_u32 v14, v9, s9
; %bb.36:
	s_or_b32 exec_lo, exec_lo, s14
	s_andn2_b32 s2, s2, exec_lo
	s_and_b32 s12, s13, exec_lo
	s_or_b32 s2, s2, s12
	s_or_b32 exec_lo, exec_lo, s3
	s_and_saveexec_b32 s3, s2
	s_cbranch_execnz .LBB1_3
	s_branch .LBB1_4
.LBB1_37:
	s_branch .LBB1_15
.LBB1_38:
	s_branch .LBB1_28
	.section	.rodata,"a",@progbits
	.p2align	6, 0x0
	.amdhsa_kernel _Z17kernel_metropolisiiPiPKiffPmS2_i
		.amdhsa_group_segment_fixed_size 4320
		.amdhsa_private_segment_fixed_size 0
		.amdhsa_kernarg_size 312
		.amdhsa_user_sgpr_count 6
		.amdhsa_user_sgpr_private_segment_buffer 1
		.amdhsa_user_sgpr_dispatch_ptr 0
		.amdhsa_user_sgpr_queue_ptr 0
		.amdhsa_user_sgpr_kernarg_segment_ptr 1
		.amdhsa_user_sgpr_dispatch_id 0
		.amdhsa_user_sgpr_flat_scratch_init 0
		.amdhsa_user_sgpr_private_segment_size 0
		.amdhsa_wavefront_size32 1
		.amdhsa_uses_dynamic_stack 0
		.amdhsa_system_sgpr_private_segment_wavefront_offset 0
		.amdhsa_system_sgpr_workgroup_id_x 1
		.amdhsa_system_sgpr_workgroup_id_y 1
		.amdhsa_system_sgpr_workgroup_id_z 1
		.amdhsa_system_sgpr_workgroup_info 0
		.amdhsa_system_vgpr_workitem_id 2
		.amdhsa_next_free_vgpr 28
		.amdhsa_next_free_sgpr 15
		.amdhsa_reserve_vcc 1
		.amdhsa_reserve_flat_scratch 0
		.amdhsa_float_round_mode_32 0
		.amdhsa_float_round_mode_16_64 0
		.amdhsa_float_denorm_mode_32 3
		.amdhsa_float_denorm_mode_16_64 3
		.amdhsa_dx10_clamp 1
		.amdhsa_ieee_mode 1
		.amdhsa_fp16_overflow 0
		.amdhsa_workgroup_processor_mode 1
		.amdhsa_memory_ordered 1
		.amdhsa_forward_progress 1
		.amdhsa_shared_vgpr_count 0
		.amdhsa_exception_fp_ieee_invalid_op 0
		.amdhsa_exception_fp_denorm_src 0
		.amdhsa_exception_fp_ieee_div_zero 0
		.amdhsa_exception_fp_ieee_overflow 0
		.amdhsa_exception_fp_ieee_underflow 0
		.amdhsa_exception_fp_ieee_inexact 0
		.amdhsa_exception_int_div_zero 0
	.end_amdhsa_kernel
	.text
.Lfunc_end1:
	.size	_Z17kernel_metropolisiiPiPKiffPmS2_i, .Lfunc_end1-_Z17kernel_metropolisiiPiPKiffPmS2_i
                                        ; -- End function
	.set _Z17kernel_metropolisiiPiPKiffPmS2_i.num_vgpr, 28
	.set _Z17kernel_metropolisiiPiPKiffPmS2_i.num_agpr, 0
	.set _Z17kernel_metropolisiiPiPKiffPmS2_i.numbered_sgpr, 15
	.set _Z17kernel_metropolisiiPiPKiffPmS2_i.num_named_barrier, 0
	.set _Z17kernel_metropolisiiPiPKiffPmS2_i.private_seg_size, 0
	.set _Z17kernel_metropolisiiPiPKiffPmS2_i.uses_vcc, 1
	.set _Z17kernel_metropolisiiPiPKiffPmS2_i.uses_flat_scratch, 0
	.set _Z17kernel_metropolisiiPiPKiffPmS2_i.has_dyn_sized_stack, 0
	.set _Z17kernel_metropolisiiPiPKiffPmS2_i.has_recursion, 0
	.set _Z17kernel_metropolisiiPiPKiffPmS2_i.has_indirect_call, 0
	.section	.AMDGPU.csdata,"",@progbits
; Kernel info:
; codeLenInByte = 2628
; TotalNumSgprs: 17
; NumVgprs: 28
; ScratchSize: 0
; MemoryBound: 0
; FloatMode: 240
; IeeeMode: 1
; LDSByteSize: 4320 bytes/workgroup (compile time only)
; SGPRBlocks: 0
; VGPRBlocks: 3
; NumSGPRsForWavesPerEU: 17
; NumVGPRsForWavesPerEU: 28
; Occupancy: 16
; WaveLimiterHint : 0
; COMPUTE_PGM_RSRC2:SCRATCH_EN: 0
; COMPUTE_PGM_RSRC2:USER_SGPR: 6
; COMPUTE_PGM_RSRC2:TRAP_HANDLER: 0
; COMPUTE_PGM_RSRC2:TGID_X_EN: 1
; COMPUTE_PGM_RSRC2:TGID_Y_EN: 1
; COMPUTE_PGM_RSRC2:TGID_Z_EN: 1
; COMPUTE_PGM_RSRC2:TIDIG_COMP_CNT: 2
	.text
	.protected	_Z26kernel_reset_random_gpupcgPiiPmS0_ ; -- Begin function _Z26kernel_reset_random_gpupcgPiiPmS0_
	.globl	_Z26kernel_reset_random_gpupcgPiiPmS0_
	.p2align	8
	.type	_Z26kernel_reset_random_gpupcgPiiPmS0_,@function
_Z26kernel_reset_random_gpupcgPiiPmS0_: ; @_Z26kernel_reset_random_gpupcgPiiPmS0_
; %bb.0:
	s_clause 0x1
	s_load_dword s0, s[4:5], 0x2c
	s_load_dword s7, s[4:5], 0x8
	s_waitcnt lgkmcnt(0)
	s_and_b32 s0, s0, 0xffff
	v_mad_u64_u32 v[0:1], null, s6, s0, v[0:1]
	s_ashr_i32 s0, s7, 31
	s_lshr_b32 s0, s0, 30
	s_add_i32 s0, s7, s0
	s_ashr_i32 s2, s0, 2
	s_mov_b32 s0, exec_lo
	v_cmpx_gt_i32_e64 s2, v0
	s_cbranch_execz .LBB2_2
; %bb.1:
	s_clause 0x1
	s_load_dwordx4 s[8:11], s[4:5], 0x10
	s_load_dwordx2 s[0:1], s[4:5], 0x0
	v_ashrrev_i32_e32 v1, 31, v0
	s_mul_i32 s5, s7, 3
	s_lshr_b32 s4, s7, 31
	s_ashr_i32 s6, s5, 31
	s_add_i32 s7, s7, s4
	v_lshlrev_b64 v[2:3], 3, v[0:1]
	v_lshlrev_b64 v[0:1], 2, v[0:1]
	s_lshr_b32 s6, s6, 30
	s_ashr_i32 s3, s2, 31
	s_ashr_i32 s4, s7, 1
	s_add_i32 s5, s5, s6
	s_lshl_b64 s[2:3], s[2:3], 2
	s_ashr_i32 s6, s5, 2
	s_ashr_i32 s5, s4, 31
	;; [unrolled: 1-line block ×3, first 2 shown]
	s_lshl_b64 s[4:5], s[4:5], 2
	s_lshl_b64 s[6:7], s[6:7], 2
	s_waitcnt lgkmcnt(0)
	v_add_co_u32 v4, vcc_lo, s8, v2
	v_add_co_ci_u32_e64 v5, null, s9, v3, vcc_lo
	v_add_co_u32 v2, vcc_lo, s10, v2
	v_add_co_ci_u32_e64 v3, null, s11, v3, vcc_lo
	global_load_dwordx2 v[6:7], v[4:5], off
	global_load_dwordx2 v[8:9], v[2:3], off
	v_add_co_u32 v0, vcc_lo, s0, v0
	v_add_co_ci_u32_e64 v1, null, s1, v1, vcc_lo
	s_waitcnt vmcnt(1)
	v_mul_lo_u32 v12, 0x5851f42d, v6
	s_waitcnt vmcnt(0)
	v_mad_u64_u32 v[10:11], null, 0x4c957f2d, v6, v[8:9]
	v_mul_lo_u32 v13, 0x4c957f2d, v7
	v_lshrrev_b32_e32 v16, 13, v7
	v_alignbit_b32 v6, v7, v6, 27
	v_lshrrev_b32_e32 v17, 27, v7
	v_mul_lo_u32 v14, 0x5851f42d, v10
	v_add3_u32 v13, v13, v11, v12
	v_mad_u64_u32 v[11:12], null, 0x4c957f2d, v10, v[8:9]
	v_mul_lo_u32 v15, 0x4c957f2d, v13
	v_alignbit_b32 v10, v13, v10, 27
	v_add3_u32 v12, v15, v12, v14
	v_xor_b32_e32 v14, v16, v6
	v_mul_lo_u32 v15, 0x5851f42d, v11
	v_mad_u64_u32 v[6:7], null, 0x4c957f2d, v11, v[8:9]
	v_mul_lo_u32 v16, 0x4c957f2d, v12
	v_alignbit_b32 v14, v14, v14, v17
	v_lshrrev_b32_e32 v17, 13, v13
	v_alignbit_b32 v11, v12, v11, 27
	v_xor_b32_e32 v17, v17, v10
	v_add3_u32 v15, v16, v7, v15
	v_lshrrev_b32_e32 v7, 27, v13
	v_cvt_f32_u32_e32 v13, v14
	v_lshrrev_b32_e32 v14, 13, v12
	v_lshrrev_b32_e32 v12, 27, v12
	;; [unrolled: 1-line block ×3, first 2 shown]
	v_alignbit_b32 v18, v15, v6, 27
	v_lshrrev_b32_e32 v19, 27, v15
	v_xor_b32_e32 v14, v14, v11
	v_alignbit_b32 v7, v17, v17, v7
	v_mul_lo_u32 v20, 0x4c957f2d, v15
	v_xor_b32_e32 v16, v16, v18
	v_fma_f32 v18, 0x2f800000, v13, 0.5
	v_alignbit_b32 v14, v14, v14, v12
	v_cvt_f32_u32_e32 v7, v7
	v_add_co_u32 v10, vcc_lo, v0, s2
	v_alignbit_b32 v16, v16, v16, v19
	v_cvt_f32_u32_e32 v14, v14
	v_fma_f32 v19, 0x2f800000, v7, 0.5
	v_cvt_i32_f32_e32 v17, v18
	v_mul_lo_u32 v18, 0x5851f42d, v6
	v_cvt_f32_u32_e32 v16, v16
	v_fma_f32 v14, 0x2f800000, v14, 0.5
	v_cvt_i32_f32_e32 v19, v19
	v_cvt_f32_i32_e32 v17, v17
	v_mad_u64_u32 v[6:7], null, 0x4c957f2d, v6, v[8:9]
	v_fma_f32 v16, 0x2f800000, v16, 0.5
	v_cvt_i32_f32_e32 v14, v14
	v_cvt_f32_i32_e32 v19, v19
	v_fma_f32 v17, v17, -2.0, 1.0
	v_add_co_ci_u32_e64 v11, null, s3, v1, vcc_lo
	v_cvt_i32_f32_e32 v16, v16
	v_cvt_f32_i32_e32 v21, v14
	v_fma_f32 v19, v19, -2.0, 1.0
	v_add_co_u32 v12, vcc_lo, v0, s4
	v_cvt_f32_i32_e32 v16, v16
	v_fma_f32 v21, v21, -2.0, 1.0
	v_cvt_i32_f32_e32 v17, v17
	v_add3_u32 v7, v20, v7, v18
	v_add_co_ci_u32_e64 v13, null, s5, v1, vcc_lo
	v_fma_f32 v16, v16, -2.0, 1.0
	v_add_co_u32 v14, vcc_lo, v0, s6
	v_cvt_i32_f32_e32 v18, v19
	v_cvt_i32_f32_e32 v19, v21
	v_add_co_ci_u32_e64 v15, null, s7, v1, vcc_lo
	v_cvt_i32_f32_e32 v16, v16
	global_store_dword v[0:1], v17, off
	global_store_dwordx2 v[4:5], v[6:7], off
	global_store_dword v[10:11], v18, off
	global_store_dword v[12:13], v19, off
	;; [unrolled: 1-line block ×3, first 2 shown]
	global_store_dwordx2 v[2:3], v[8:9], off
.LBB2_2:
	s_endpgm
	.section	.rodata,"a",@progbits
	.p2align	6, 0x0
	.amdhsa_kernel _Z26kernel_reset_random_gpupcgPiiPmS0_
		.amdhsa_group_segment_fixed_size 0
		.amdhsa_private_segment_fixed_size 0
		.amdhsa_kernarg_size 288
		.amdhsa_user_sgpr_count 6
		.amdhsa_user_sgpr_private_segment_buffer 1
		.amdhsa_user_sgpr_dispatch_ptr 0
		.amdhsa_user_sgpr_queue_ptr 0
		.amdhsa_user_sgpr_kernarg_segment_ptr 1
		.amdhsa_user_sgpr_dispatch_id 0
		.amdhsa_user_sgpr_flat_scratch_init 0
		.amdhsa_user_sgpr_private_segment_size 0
		.amdhsa_wavefront_size32 1
		.amdhsa_uses_dynamic_stack 0
		.amdhsa_system_sgpr_private_segment_wavefront_offset 0
		.amdhsa_system_sgpr_workgroup_id_x 1
		.amdhsa_system_sgpr_workgroup_id_y 0
		.amdhsa_system_sgpr_workgroup_id_z 0
		.amdhsa_system_sgpr_workgroup_info 0
		.amdhsa_system_vgpr_workitem_id 0
		.amdhsa_next_free_vgpr 22
		.amdhsa_next_free_sgpr 12
		.amdhsa_reserve_vcc 1
		.amdhsa_reserve_flat_scratch 0
		.amdhsa_float_round_mode_32 0
		.amdhsa_float_round_mode_16_64 0
		.amdhsa_float_denorm_mode_32 3
		.amdhsa_float_denorm_mode_16_64 3
		.amdhsa_dx10_clamp 1
		.amdhsa_ieee_mode 1
		.amdhsa_fp16_overflow 0
		.amdhsa_workgroup_processor_mode 1
		.amdhsa_memory_ordered 1
		.amdhsa_forward_progress 1
		.amdhsa_shared_vgpr_count 0
		.amdhsa_exception_fp_ieee_invalid_op 0
		.amdhsa_exception_fp_denorm_src 0
		.amdhsa_exception_fp_ieee_div_zero 0
		.amdhsa_exception_fp_ieee_overflow 0
		.amdhsa_exception_fp_ieee_underflow 0
		.amdhsa_exception_fp_ieee_inexact 0
		.amdhsa_exception_int_div_zero 0
	.end_amdhsa_kernel
	.text
.Lfunc_end2:
	.size	_Z26kernel_reset_random_gpupcgPiiPmS0_, .Lfunc_end2-_Z26kernel_reset_random_gpupcgPiiPmS0_
                                        ; -- End function
	.set _Z26kernel_reset_random_gpupcgPiiPmS0_.num_vgpr, 22
	.set _Z26kernel_reset_random_gpupcgPiiPmS0_.num_agpr, 0
	.set _Z26kernel_reset_random_gpupcgPiiPmS0_.numbered_sgpr, 12
	.set _Z26kernel_reset_random_gpupcgPiiPmS0_.num_named_barrier, 0
	.set _Z26kernel_reset_random_gpupcgPiiPmS0_.private_seg_size, 0
	.set _Z26kernel_reset_random_gpupcgPiiPmS0_.uses_vcc, 1
	.set _Z26kernel_reset_random_gpupcgPiiPmS0_.uses_flat_scratch, 0
	.set _Z26kernel_reset_random_gpupcgPiiPmS0_.has_dyn_sized_stack, 0
	.set _Z26kernel_reset_random_gpupcgPiiPmS0_.has_recursion, 0
	.set _Z26kernel_reset_random_gpupcgPiiPmS0_.has_indirect_call, 0
	.section	.AMDGPU.csdata,"",@progbits
; Kernel info:
; codeLenInByte = 776
; TotalNumSgprs: 14
; NumVgprs: 22
; ScratchSize: 0
; MemoryBound: 0
; FloatMode: 240
; IeeeMode: 1
; LDSByteSize: 0 bytes/workgroup (compile time only)
; SGPRBlocks: 0
; VGPRBlocks: 2
; NumSGPRsForWavesPerEU: 14
; NumVGPRsForWavesPerEU: 22
; Occupancy: 16
; WaveLimiterHint : 0
; COMPUTE_PGM_RSRC2:SCRATCH_EN: 0
; COMPUTE_PGM_RSRC2:USER_SGPR: 6
; COMPUTE_PGM_RSRC2:TRAP_HANDLER: 0
; COMPUTE_PGM_RSRC2:TGID_X_EN: 1
; COMPUTE_PGM_RSRC2:TGID_Y_EN: 0
; COMPUTE_PGM_RSRC2:TGID_Z_EN: 0
; COMPUTE_PGM_RSRC2:TIDIG_COMP_CNT: 0
	.section	.text._Z12kernel_resetIiEvPT_iS0_,"axG",@progbits,_Z12kernel_resetIiEvPT_iS0_,comdat
	.protected	_Z12kernel_resetIiEvPT_iS0_ ; -- Begin function _Z12kernel_resetIiEvPT_iS0_
	.globl	_Z12kernel_resetIiEvPT_iS0_
	.p2align	8
	.type	_Z12kernel_resetIiEvPT_iS0_,@function
_Z12kernel_resetIiEvPT_iS0_:            ; @_Z12kernel_resetIiEvPT_iS0_
; %bb.0:
	s_clause 0x1
	s_load_dword s2, s[4:5], 0x1c
	s_load_dwordx2 s[0:1], s[4:5], 0x8
	s_waitcnt lgkmcnt(0)
	s_and_b32 s2, s2, 0xffff
	v_mad_u64_u32 v[0:1], null, s6, s2, v[0:1]
	v_cmp_gt_i32_e32 vcc_lo, s0, v0
	s_and_saveexec_b32 s0, vcc_lo
	s_cbranch_execz .LBB3_2
; %bb.1:
	s_load_dwordx2 s[2:3], s[4:5], 0x0
	v_ashrrev_i32_e32 v1, 31, v0
	v_mov_b32_e32 v2, s1
	v_lshlrev_b64 v[0:1], 2, v[0:1]
	s_waitcnt lgkmcnt(0)
	v_add_co_u32 v0, vcc_lo, s2, v0
	v_add_co_ci_u32_e64 v1, null, s3, v1, vcc_lo
	global_store_dword v[0:1], v2, off
.LBB3_2:
	s_endpgm
	.section	.rodata,"a",@progbits
	.p2align	6, 0x0
	.amdhsa_kernel _Z12kernel_resetIiEvPT_iS0_
		.amdhsa_group_segment_fixed_size 0
		.amdhsa_private_segment_fixed_size 0
		.amdhsa_kernarg_size 272
		.amdhsa_user_sgpr_count 6
		.amdhsa_user_sgpr_private_segment_buffer 1
		.amdhsa_user_sgpr_dispatch_ptr 0
		.amdhsa_user_sgpr_queue_ptr 0
		.amdhsa_user_sgpr_kernarg_segment_ptr 1
		.amdhsa_user_sgpr_dispatch_id 0
		.amdhsa_user_sgpr_flat_scratch_init 0
		.amdhsa_user_sgpr_private_segment_size 0
		.amdhsa_wavefront_size32 1
		.amdhsa_uses_dynamic_stack 0
		.amdhsa_system_sgpr_private_segment_wavefront_offset 0
		.amdhsa_system_sgpr_workgroup_id_x 1
		.amdhsa_system_sgpr_workgroup_id_y 0
		.amdhsa_system_sgpr_workgroup_id_z 0
		.amdhsa_system_sgpr_workgroup_info 0
		.amdhsa_system_vgpr_workitem_id 0
		.amdhsa_next_free_vgpr 3
		.amdhsa_next_free_sgpr 7
		.amdhsa_reserve_vcc 1
		.amdhsa_reserve_flat_scratch 0
		.amdhsa_float_round_mode_32 0
		.amdhsa_float_round_mode_16_64 0
		.amdhsa_float_denorm_mode_32 3
		.amdhsa_float_denorm_mode_16_64 3
		.amdhsa_dx10_clamp 1
		.amdhsa_ieee_mode 1
		.amdhsa_fp16_overflow 0
		.amdhsa_workgroup_processor_mode 1
		.amdhsa_memory_ordered 1
		.amdhsa_forward_progress 1
		.amdhsa_shared_vgpr_count 0
		.amdhsa_exception_fp_ieee_invalid_op 0
		.amdhsa_exception_fp_denorm_src 0
		.amdhsa_exception_fp_ieee_div_zero 0
		.amdhsa_exception_fp_ieee_overflow 0
		.amdhsa_exception_fp_ieee_underflow 0
		.amdhsa_exception_fp_ieee_inexact 0
		.amdhsa_exception_int_div_zero 0
	.end_amdhsa_kernel
	.section	.text._Z12kernel_resetIiEvPT_iS0_,"axG",@progbits,_Z12kernel_resetIiEvPT_iS0_,comdat
.Lfunc_end3:
	.size	_Z12kernel_resetIiEvPT_iS0_, .Lfunc_end3-_Z12kernel_resetIiEvPT_iS0_
                                        ; -- End function
	.set _Z12kernel_resetIiEvPT_iS0_.num_vgpr, 3
	.set _Z12kernel_resetIiEvPT_iS0_.num_agpr, 0
	.set _Z12kernel_resetIiEvPT_iS0_.numbered_sgpr, 7
	.set _Z12kernel_resetIiEvPT_iS0_.num_named_barrier, 0
	.set _Z12kernel_resetIiEvPT_iS0_.private_seg_size, 0
	.set _Z12kernel_resetIiEvPT_iS0_.uses_vcc, 1
	.set _Z12kernel_resetIiEvPT_iS0_.uses_flat_scratch, 0
	.set _Z12kernel_resetIiEvPT_iS0_.has_dyn_sized_stack, 0
	.set _Z12kernel_resetIiEvPT_iS0_.has_recursion, 0
	.set _Z12kernel_resetIiEvPT_iS0_.has_indirect_call, 0
	.section	.AMDGPU.csdata,"",@progbits
; Kernel info:
; codeLenInByte = 108
; TotalNumSgprs: 9
; NumVgprs: 3
; ScratchSize: 0
; MemoryBound: 0
; FloatMode: 240
; IeeeMode: 1
; LDSByteSize: 0 bytes/workgroup (compile time only)
; SGPRBlocks: 0
; VGPRBlocks: 0
; NumSGPRsForWavesPerEU: 9
; NumVGPRsForWavesPerEU: 3
; Occupancy: 16
; WaveLimiterHint : 0
; COMPUTE_PGM_RSRC2:SCRATCH_EN: 0
; COMPUTE_PGM_RSRC2:USER_SGPR: 6
; COMPUTE_PGM_RSRC2:TRAP_HANDLER: 0
; COMPUTE_PGM_RSRC2:TGID_X_EN: 1
; COMPUTE_PGM_RSRC2:TGID_Y_EN: 0
; COMPUTE_PGM_RSRC2:TGID_Z_EN: 0
; COMPUTE_PGM_RSRC2:TIDIG_COMP_CNT: 0
	.section	.text._Z12kernel_resetIfEvPT_iS0_,"axG",@progbits,_Z12kernel_resetIfEvPT_iS0_,comdat
	.protected	_Z12kernel_resetIfEvPT_iS0_ ; -- Begin function _Z12kernel_resetIfEvPT_iS0_
	.globl	_Z12kernel_resetIfEvPT_iS0_
	.p2align	8
	.type	_Z12kernel_resetIfEvPT_iS0_,@function
_Z12kernel_resetIfEvPT_iS0_:            ; @_Z12kernel_resetIfEvPT_iS0_
; %bb.0:
	s_clause 0x1
	s_load_dword s2, s[4:5], 0x1c
	s_load_dwordx2 s[0:1], s[4:5], 0x8
	s_waitcnt lgkmcnt(0)
	s_and_b32 s2, s2, 0xffff
	v_mad_u64_u32 v[0:1], null, s6, s2, v[0:1]
	v_cmp_gt_i32_e32 vcc_lo, s0, v0
	s_and_saveexec_b32 s0, vcc_lo
	s_cbranch_execz .LBB4_2
; %bb.1:
	s_load_dwordx2 s[2:3], s[4:5], 0x0
	v_ashrrev_i32_e32 v1, 31, v0
	v_mov_b32_e32 v2, s1
	v_lshlrev_b64 v[0:1], 2, v[0:1]
	s_waitcnt lgkmcnt(0)
	v_add_co_u32 v0, vcc_lo, s2, v0
	v_add_co_ci_u32_e64 v1, null, s3, v1, vcc_lo
	global_store_dword v[0:1], v2, off
.LBB4_2:
	s_endpgm
	.section	.rodata,"a",@progbits
	.p2align	6, 0x0
	.amdhsa_kernel _Z12kernel_resetIfEvPT_iS0_
		.amdhsa_group_segment_fixed_size 0
		.amdhsa_private_segment_fixed_size 0
		.amdhsa_kernarg_size 272
		.amdhsa_user_sgpr_count 6
		.amdhsa_user_sgpr_private_segment_buffer 1
		.amdhsa_user_sgpr_dispatch_ptr 0
		.amdhsa_user_sgpr_queue_ptr 0
		.amdhsa_user_sgpr_kernarg_segment_ptr 1
		.amdhsa_user_sgpr_dispatch_id 0
		.amdhsa_user_sgpr_flat_scratch_init 0
		.amdhsa_user_sgpr_private_segment_size 0
		.amdhsa_wavefront_size32 1
		.amdhsa_uses_dynamic_stack 0
		.amdhsa_system_sgpr_private_segment_wavefront_offset 0
		.amdhsa_system_sgpr_workgroup_id_x 1
		.amdhsa_system_sgpr_workgroup_id_y 0
		.amdhsa_system_sgpr_workgroup_id_z 0
		.amdhsa_system_sgpr_workgroup_info 0
		.amdhsa_system_vgpr_workitem_id 0
		.amdhsa_next_free_vgpr 3
		.amdhsa_next_free_sgpr 7
		.amdhsa_reserve_vcc 1
		.amdhsa_reserve_flat_scratch 0
		.amdhsa_float_round_mode_32 0
		.amdhsa_float_round_mode_16_64 0
		.amdhsa_float_denorm_mode_32 3
		.amdhsa_float_denorm_mode_16_64 3
		.amdhsa_dx10_clamp 1
		.amdhsa_ieee_mode 1
		.amdhsa_fp16_overflow 0
		.amdhsa_workgroup_processor_mode 1
		.amdhsa_memory_ordered 1
		.amdhsa_forward_progress 1
		.amdhsa_shared_vgpr_count 0
		.amdhsa_exception_fp_ieee_invalid_op 0
		.amdhsa_exception_fp_denorm_src 0
		.amdhsa_exception_fp_ieee_div_zero 0
		.amdhsa_exception_fp_ieee_overflow 0
		.amdhsa_exception_fp_ieee_underflow 0
		.amdhsa_exception_fp_ieee_inexact 0
		.amdhsa_exception_int_div_zero 0
	.end_amdhsa_kernel
	.section	.text._Z12kernel_resetIfEvPT_iS0_,"axG",@progbits,_Z12kernel_resetIfEvPT_iS0_,comdat
.Lfunc_end4:
	.size	_Z12kernel_resetIfEvPT_iS0_, .Lfunc_end4-_Z12kernel_resetIfEvPT_iS0_
                                        ; -- End function
	.set _Z12kernel_resetIfEvPT_iS0_.num_vgpr, 3
	.set _Z12kernel_resetIfEvPT_iS0_.num_agpr, 0
	.set _Z12kernel_resetIfEvPT_iS0_.numbered_sgpr, 7
	.set _Z12kernel_resetIfEvPT_iS0_.num_named_barrier, 0
	.set _Z12kernel_resetIfEvPT_iS0_.private_seg_size, 0
	.set _Z12kernel_resetIfEvPT_iS0_.uses_vcc, 1
	.set _Z12kernel_resetIfEvPT_iS0_.uses_flat_scratch, 0
	.set _Z12kernel_resetIfEvPT_iS0_.has_dyn_sized_stack, 0
	.set _Z12kernel_resetIfEvPT_iS0_.has_recursion, 0
	.set _Z12kernel_resetIfEvPT_iS0_.has_indirect_call, 0
	.section	.AMDGPU.csdata,"",@progbits
; Kernel info:
; codeLenInByte = 108
; TotalNumSgprs: 9
; NumVgprs: 3
; ScratchSize: 0
; MemoryBound: 0
; FloatMode: 240
; IeeeMode: 1
; LDSByteSize: 0 bytes/workgroup (compile time only)
; SGPRBlocks: 0
; VGPRBlocks: 0
; NumSGPRsForWavesPerEU: 9
; NumVGPRsForWavesPerEU: 3
; Occupancy: 16
; WaveLimiterHint : 0
; COMPUTE_PGM_RSRC2:SCRATCH_EN: 0
; COMPUTE_PGM_RSRC2:USER_SGPR: 6
; COMPUTE_PGM_RSRC2:TRAP_HANDLER: 0
; COMPUTE_PGM_RSRC2:TGID_X_EN: 1
; COMPUTE_PGM_RSRC2:TGID_Y_EN: 0
; COMPUTE_PGM_RSRC2:TGID_Z_EN: 0
; COMPUTE_PGM_RSRC2:TIDIG_COMP_CNT: 0
	.section	.text._Z16kernel_redenergyIfEvPKiiPT_S1_f,"axG",@progbits,_Z16kernel_redenergyIfEvPKiiPT_S1_f,comdat
	.protected	_Z16kernel_redenergyIfEvPKiiPT_S1_f ; -- Begin function _Z16kernel_redenergyIfEvPKiiPT_S1_f
	.globl	_Z16kernel_redenergyIfEvPKiiPT_S1_f
	.p2align	8
	.type	_Z16kernel_redenergyIfEvPKiiPT_S1_f,@function
_Z16kernel_redenergyIfEvPKiiPT_S1_f:    ; @_Z16kernel_redenergyIfEvPKiiPT_S1_f
; %bb.0:
	s_clause 0x2
	s_load_dwordx2 s[0:1], s[4:5], 0x34
	s_load_dword s2, s[4:5], 0x8
	s_load_dwordx2 s[12:13], s[4:5], 0x0
	s_waitcnt lgkmcnt(0)
	s_lshr_b32 s10, s0, 16
	s_and_b32 s9, s1, 0xffff
	v_mad_u64_u32 v[3:4], null, s7, s10, v[1:2]
	s_and_b32 s7, s0, 0xffff
	v_mad_u64_u32 v[4:5], null, s8, s9, v[2:3]
	v_mad_u64_u32 v[5:6], null, s6, s7, v[0:1]
	v_add_nc_u32_e32 v6, 1, v3
	v_lshlrev_b32_e32 v1, 4, v1
	v_lshlrev_b32_e32 v2, 7, v2
	v_mul_lo_u32 v7, v4, s2
	v_add_nc_u32_e32 v4, 1, v4
	v_cmp_gt_i32_e32 vcc_lo, s2, v6
	v_add_nc_u32_e32 v9, 1, v5
	v_cndmask_b32_e32 v6, 0, v6, vcc_lo
	v_cmp_gt_i32_e32 vcc_lo, s2, v4
	v_add_nc_u32_e32 v8, v7, v3
	v_add_nc_u32_e32 v6, v6, v7
	v_cndmask_b32_e32 v4, 0, v4, vcc_lo
	v_cmp_gt_i32_e32 vcc_lo, s2, v9
	v_mul_lo_u32 v10, v8, s2
	v_mad_u64_u32 v[6:7], null, v6, s2, v[5:6]
	v_mad_u64_u32 v[3:4], null, v4, s2, v[3:4]
	v_cndmask_b32_e32 v7, 0, v9, vcc_lo
	v_add_nc_u32_e32 v8, v10, v5
	v_add_nc_u32_e32 v10, v10, v7
	v_mad_u64_u32 v[3:4], null, v3, s2, v[5:6]
	s_load_dwordx4 s[0:3], s[4:5], 0x10
	v_ashrrev_i32_e32 v7, 31, v6
	v_ashrrev_i32_e32 v9, 31, v8
	;; [unrolled: 1-line block ×3, first 2 shown]
	s_load_dword s4, s[4:5], 0x20
	v_ashrrev_i32_e32 v4, 31, v3
	v_lshlrev_b64 v[5:6], 2, v[6:7]
	v_lshlrev_b64 v[7:8], 2, v[8:9]
	v_lshlrev_b64 v[9:10], 2, v[10:11]
	v_lshlrev_b64 v[3:4], 2, v[3:4]
	v_add_co_u32 v5, vcc_lo, s12, v5
	v_add_co_ci_u32_e64 v6, null, s13, v6, vcc_lo
	v_add_co_u32 v9, vcc_lo, s12, v9
	v_add_co_ci_u32_e64 v10, null, s13, v10, vcc_lo
	v_add_co_u32 v3, vcc_lo, s12, v3
	v_add_co_ci_u32_e64 v4, null, s13, v4, vcc_lo
	s_waitcnt lgkmcnt(0)
	v_add_co_u32 v11, vcc_lo, s2, v7
	v_add_co_ci_u32_e64 v12, null, s3, v8, vcc_lo
	s_clause 0x2
	global_load_dword v9, v[9:10], off
	global_load_dword v5, v[5:6], off
	;; [unrolled: 1-line block ×3, first 2 shown]
	v_add_co_u32 v3, vcc_lo, s12, v7
	v_add_co_ci_u32_e64 v4, null, s13, v8, vcc_lo
	global_load_dword v7, v[11:12], off
	global_load_dword v3, v[3:4], off
	s_mov_b32 s2, exec_lo
	s_waitcnt vmcnt(2)
	v_add3_u32 v4, v5, v9, v6
	v_cvt_f32_i32_e32 v6, v4
	s_waitcnt vmcnt(1)
	v_cvt_f32_i32_e32 v5, v7
	v_mbcnt_lo_u32_b32 v7, -1, 0
	s_waitcnt vmcnt(0)
	v_cvt_f32_i32_e32 v8, v3
	v_fmac_f32_e32 v6, s4, v5
	v_lshl_or_b32 v3, v7, 2, 64
	v_cmp_gt_u32_e32 vcc_lo, 24, v7
	v_mul_f32_e64 v4, v6, -v8
	ds_bpermute_b32 v5, v3, v4
	v_cndmask_b32_e64 v4, 0, 8, vcc_lo
	v_cmp_gt_u32_e32 vcc_lo, 28, v7
	v_add_lshl_u32 v4, v4, v7, 2
	s_waitcnt lgkmcnt(0)
	v_fma_f32 v6, v6, -v8, v5
	v_cndmask_b32_e64 v5, 0, 4, vcc_lo
	v_cmp_gt_u32_e32 vcc_lo, 30, v7
	ds_bpermute_b32 v8, v4, v6
	v_add_lshl_u32 v5, v5, v7, 2
	s_waitcnt lgkmcnt(0)
	v_add_f32_e32 v8, v6, v8
	v_cndmask_b32_e64 v6, 0, 2, vcc_lo
	v_cmp_ne_u32_e32 vcc_lo, 31, v7
	ds_bpermute_b32 v9, v5, v8
	v_add_lshl_u32 v6, v6, v7, 2
	v_add_co_ci_u32_e64 v7, null, 0, v7, vcc_lo
	v_lshlrev_b32_e32 v7, 2, v7
	s_waitcnt lgkmcnt(0)
	v_add_f32_e32 v8, v8, v9
	ds_bpermute_b32 v9, v6, v8
	s_waitcnt lgkmcnt(0)
	v_add_f32_e32 v8, v8, v9
	v_add_nc_u32_e32 v9, v1, v0
	ds_bpermute_b32 v11, v7, v8
	v_and_b32_e32 v10, 31, v9
	v_add_nc_u32_e32 v9, v9, v2
	v_cmpx_eq_u32_e32 0, v10
	s_cbranch_execz .LBB5_2
; %bb.1:
	s_waitcnt lgkmcnt(0)
	v_add_f32_e32 v8, v8, v11
	v_lshrrev_b32_e32 v11, 3, v9
	ds_write_b32 v11, v8
.LBB5_2:
	s_or_b32 exec_lo, exec_lo, s2
	s_mul_i32 s2, s10, s7
	v_mov_b32_e32 v8, 0
	s_mul_i32 s2, s2, s9
	s_waitcnt lgkmcnt(0)
	s_lshr_b32 s2, s2, 5
	s_barrier
	v_cmp_gt_u32_e32 vcc_lo, s2, v9
	buffer_gl0_inv
	s_and_saveexec_b32 s2, vcc_lo
; %bb.3:
	v_lshlrev_b32_e32 v8, 2, v10
	ds_read_b32 v8, v8
; %bb.4:
	s_or_b32 exec_lo, exec_lo, s2
	s_mov_b32 s2, exec_lo
	v_cmpx_gt_u32_e32 32, v9
	s_cbranch_execz .LBB5_6
; %bb.5:
	s_waitcnt lgkmcnt(0)
	ds_bpermute_b32 v3, v3, v8
	s_waitcnt lgkmcnt(0)
	v_add_f32_e32 v3, v8, v3
	ds_bpermute_b32 v4, v4, v3
	s_waitcnt lgkmcnt(0)
	v_add_f32_e32 v3, v3, v4
	;; [unrolled: 3-line block ×5, first 2 shown]
.LBB5_6:
	s_or_b32 exec_lo, exec_lo, s2
	v_add_nc_u32_e32 v1, v2, v1
	s_mov_b32 s2, exec_lo
	v_or_b32_e32 v0, v1, v0
	v_cmpx_eq_u32_e32 0, v0
	s_cbranch_execz .LBB5_12
; %bb.7:
	v_bfrev_b32_e32 v2, 1
	s_mov_b32 s2, exec_lo
.LBB5_8:                                ; =>This Inner Loop Header: Depth=1
	s_ff1_i32_b32 s3, s2
	s_waitcnt lgkmcnt(0)
	v_readlane_b32 s4, v8, s3
	s_lshl_b32 s3, 1, s3
	s_andn2_b32 s2, s2, s3
	s_cmp_lg_u32 s2, 0
	v_add_f32_e32 v2, s4, v2
	s_cbranch_scc1 .LBB5_8
; %bb.9:
	v_mbcnt_lo_u32_b32 v0, exec_lo, 0
	s_mov_b32 s2, 0
	s_mov_b32 s3, exec_lo
	v_cmpx_eq_u32_e32 0, v0
	s_xor_b32 s3, exec_lo, s3
	s_cbranch_execz .LBB5_12
; %bb.10:
	s_load_dword s3, s[0:1], 0x0
	v_mov_b32_e32 v3, 0
	s_waitcnt lgkmcnt(0)
	v_mov_b32_e32 v1, s3
.LBB5_11:                               ; =>This Inner Loop Header: Depth=1
	v_add_f32_e32 v0, v1, v2
	global_atomic_cmpswap v0, v3, v[0:1], s[0:1] glc
	s_waitcnt vmcnt(0)
	v_cmp_eq_u32_e32 vcc_lo, v0, v1
	v_mov_b32_e32 v1, v0
	s_or_b32 s2, vcc_lo, s2
	s_andn2_b32 exec_lo, exec_lo, s2
	s_cbranch_execnz .LBB5_11
.LBB5_12:
	s_endpgm
	.section	.rodata,"a",@progbits
	.p2align	6, 0x0
	.amdhsa_kernel _Z16kernel_redenergyIfEvPKiiPT_S1_f
		.amdhsa_group_segment_fixed_size 128
		.amdhsa_private_segment_fixed_size 0
		.amdhsa_kernarg_size 296
		.amdhsa_user_sgpr_count 6
		.amdhsa_user_sgpr_private_segment_buffer 1
		.amdhsa_user_sgpr_dispatch_ptr 0
		.amdhsa_user_sgpr_queue_ptr 0
		.amdhsa_user_sgpr_kernarg_segment_ptr 1
		.amdhsa_user_sgpr_dispatch_id 0
		.amdhsa_user_sgpr_flat_scratch_init 0
		.amdhsa_user_sgpr_private_segment_size 0
		.amdhsa_wavefront_size32 1
		.amdhsa_uses_dynamic_stack 0
		.amdhsa_system_sgpr_private_segment_wavefront_offset 0
		.amdhsa_system_sgpr_workgroup_id_x 1
		.amdhsa_system_sgpr_workgroup_id_y 1
		.amdhsa_system_sgpr_workgroup_id_z 1
		.amdhsa_system_sgpr_workgroup_info 0
		.amdhsa_system_vgpr_workitem_id 2
		.amdhsa_next_free_vgpr 13
		.amdhsa_next_free_sgpr 14
		.amdhsa_reserve_vcc 1
		.amdhsa_reserve_flat_scratch 0
		.amdhsa_float_round_mode_32 0
		.amdhsa_float_round_mode_16_64 0
		.amdhsa_float_denorm_mode_32 3
		.amdhsa_float_denorm_mode_16_64 3
		.amdhsa_dx10_clamp 1
		.amdhsa_ieee_mode 1
		.amdhsa_fp16_overflow 0
		.amdhsa_workgroup_processor_mode 1
		.amdhsa_memory_ordered 1
		.amdhsa_forward_progress 1
		.amdhsa_shared_vgpr_count 0
		.amdhsa_exception_fp_ieee_invalid_op 0
		.amdhsa_exception_fp_denorm_src 0
		.amdhsa_exception_fp_ieee_div_zero 0
		.amdhsa_exception_fp_ieee_overflow 0
		.amdhsa_exception_fp_ieee_underflow 0
		.amdhsa_exception_fp_ieee_inexact 0
		.amdhsa_exception_int_div_zero 0
	.end_amdhsa_kernel
	.section	.text._Z16kernel_redenergyIfEvPKiiPT_S1_f,"axG",@progbits,_Z16kernel_redenergyIfEvPKiiPT_S1_f,comdat
.Lfunc_end5:
	.size	_Z16kernel_redenergyIfEvPKiiPT_S1_f, .Lfunc_end5-_Z16kernel_redenergyIfEvPKiiPT_S1_f
                                        ; -- End function
	.set _Z16kernel_redenergyIfEvPKiiPT_S1_f.num_vgpr, 13
	.set _Z16kernel_redenergyIfEvPKiiPT_S1_f.num_agpr, 0
	.set _Z16kernel_redenergyIfEvPKiiPT_S1_f.numbered_sgpr, 14
	.set _Z16kernel_redenergyIfEvPKiiPT_S1_f.num_named_barrier, 0
	.set _Z16kernel_redenergyIfEvPKiiPT_S1_f.private_seg_size, 0
	.set _Z16kernel_redenergyIfEvPKiiPT_S1_f.uses_vcc, 1
	.set _Z16kernel_redenergyIfEvPKiiPT_S1_f.uses_flat_scratch, 0
	.set _Z16kernel_redenergyIfEvPKiiPT_S1_f.has_dyn_sized_stack, 0
	.set _Z16kernel_redenergyIfEvPKiiPT_S1_f.has_recursion, 0
	.set _Z16kernel_redenergyIfEvPKiiPT_S1_f.has_indirect_call, 0
	.section	.AMDGPU.csdata,"",@progbits
; Kernel info:
; codeLenInByte = 936
; TotalNumSgprs: 16
; NumVgprs: 13
; ScratchSize: 0
; MemoryBound: 0
; FloatMode: 240
; IeeeMode: 1
; LDSByteSize: 128 bytes/workgroup (compile time only)
; SGPRBlocks: 0
; VGPRBlocks: 1
; NumSGPRsForWavesPerEU: 16
; NumVGPRsForWavesPerEU: 13
; Occupancy: 16
; WaveLimiterHint : 0
; COMPUTE_PGM_RSRC2:SCRATCH_EN: 0
; COMPUTE_PGM_RSRC2:USER_SGPR: 6
; COMPUTE_PGM_RSRC2:TRAP_HANDLER: 0
; COMPUTE_PGM_RSRC2:TGID_X_EN: 1
; COMPUTE_PGM_RSRC2:TGID_Y_EN: 1
; COMPUTE_PGM_RSRC2:TGID_Z_EN: 1
; COMPUTE_PGM_RSRC2:TIDIG_COMP_CNT: 2
	.text
	.p2alignl 6, 3214868480
	.fill 48, 4, 3214868480
	.section	.AMDGPU.gpr_maximums,"",@progbits
	.set amdgpu.max_num_vgpr, 0
	.set amdgpu.max_num_agpr, 0
	.set amdgpu.max_num_sgpr, 0
	.text
	.type	__hip_cuid_3c7abb867f89896b,@object ; @__hip_cuid_3c7abb867f89896b
	.section	.bss,"aw",@nobits
	.globl	__hip_cuid_3c7abb867f89896b
__hip_cuid_3c7abb867f89896b:
	.byte	0                               ; 0x0
	.size	__hip_cuid_3c7abb867f89896b, 1

	.ident	"AMD clang version 22.0.0git (https://github.com/RadeonOpenCompute/llvm-project roc-7.2.4 26084 f58b06dce1f9c15707c5f808fd002e18c2accf7e)"
	.section	".note.GNU-stack","",@progbits
	.addrsig
	.addrsig_sym __hip_cuid_3c7abb867f89896b
	.amdgpu_metadata
---
amdhsa.kernels:
  - .args:
      - .address_space:  global
        .offset:         0
        .size:           8
        .value_kind:     global_buffer
      - .address_space:  global
        .offset:         8
        .size:           8
        .value_kind:     global_buffer
      - .offset:         16
        .size:           4
        .value_kind:     by_value
      - .offset:         24
        .size:           8
        .value_kind:     by_value
      - .offset:         32
        .size:           8
        .value_kind:     by_value
      - .offset:         40
        .size:           4
        .value_kind:     hidden_block_count_x
      - .offset:         44
        .size:           4
        .value_kind:     hidden_block_count_y
      - .offset:         48
        .size:           4
        .value_kind:     hidden_block_count_z
      - .offset:         52
        .size:           2
        .value_kind:     hidden_group_size_x
      - .offset:         54
        .size:           2
        .value_kind:     hidden_group_size_y
      - .offset:         56
        .size:           2
        .value_kind:     hidden_group_size_z
      - .offset:         58
        .size:           2
        .value_kind:     hidden_remainder_x
      - .offset:         60
        .size:           2
        .value_kind:     hidden_remainder_y
      - .offset:         62
        .size:           2
        .value_kind:     hidden_remainder_z
      - .offset:         80
        .size:           8
        .value_kind:     hidden_global_offset_x
      - .offset:         88
        .size:           8
        .value_kind:     hidden_global_offset_y
      - .offset:         96
        .size:           8
        .value_kind:     hidden_global_offset_z
      - .offset:         104
        .size:           2
        .value_kind:     hidden_grid_dims
    .group_segment_fixed_size: 0
    .kernarg_segment_align: 8
    .kernarg_segment_size: 296
    .language:       OpenCL C
    .language_version:
      - 2
      - 0
    .max_flat_workgroup_size: 1024
    .name:           _Z19kernel_gpupcg_setupPmS_imm
    .private_segment_fixed_size: 0
    .sgpr_count:     13
    .sgpr_spill_count: 0
    .symbol:         _Z19kernel_gpupcg_setupPmS_imm.kd
    .uniform_work_group_size: 1
    .uses_dynamic_stack: false
    .vgpr_count:     10
    .vgpr_spill_count: 0
    .wavefront_size: 32
    .workgroup_processor_mode: 1
  - .args:
      - .offset:         0
        .size:           4
        .value_kind:     by_value
      - .offset:         4
        .size:           4
        .value_kind:     by_value
      - .address_space:  global
        .offset:         8
        .size:           8
        .value_kind:     global_buffer
      - .address_space:  global
        .offset:         16
        .size:           8
        .value_kind:     global_buffer
      - .offset:         24
        .size:           4
        .value_kind:     by_value
      - .offset:         28
        .size:           4
        .value_kind:     by_value
      - .address_space:  global
        .offset:         32
        .size:           8
        .value_kind:     global_buffer
      - .address_space:  global
        .offset:         40
        .size:           8
        .value_kind:     global_buffer
      - .offset:         48
        .size:           4
        .value_kind:     by_value
      - .offset:         56
        .size:           4
        .value_kind:     hidden_block_count_x
      - .offset:         60
        .size:           4
        .value_kind:     hidden_block_count_y
      - .offset:         64
        .size:           4
        .value_kind:     hidden_block_count_z
      - .offset:         68
        .size:           2
        .value_kind:     hidden_group_size_x
      - .offset:         70
        .size:           2
        .value_kind:     hidden_group_size_y
      - .offset:         72
        .size:           2
        .value_kind:     hidden_group_size_z
      - .offset:         74
        .size:           2
        .value_kind:     hidden_remainder_x
      - .offset:         76
        .size:           2
        .value_kind:     hidden_remainder_y
      - .offset:         78
        .size:           2
        .value_kind:     hidden_remainder_z
      - .offset:         96
        .size:           8
        .value_kind:     hidden_global_offset_x
      - .offset:         104
        .size:           8
        .value_kind:     hidden_global_offset_y
      - .offset:         112
        .size:           8
        .value_kind:     hidden_global_offset_z
      - .offset:         120
        .size:           2
        .value_kind:     hidden_grid_dims
    .group_segment_fixed_size: 4320
    .kernarg_segment_align: 8
    .kernarg_segment_size: 312
    .language:       OpenCL C
    .language_version:
      - 2
      - 0
    .max_flat_workgroup_size: 1024
    .name:           _Z17kernel_metropolisiiPiPKiffPmS2_i
    .private_segment_fixed_size: 0
    .sgpr_count:     17
    .sgpr_spill_count: 0
    .symbol:         _Z17kernel_metropolisiiPiPKiffPmS2_i.kd
    .uniform_work_group_size: 1
    .uses_dynamic_stack: false
    .vgpr_count:     28
    .vgpr_spill_count: 0
    .wavefront_size: 32
    .workgroup_processor_mode: 1
  - .args:
      - .address_space:  global
        .offset:         0
        .size:           8
        .value_kind:     global_buffer
      - .offset:         8
        .size:           4
        .value_kind:     by_value
      - .address_space:  global
        .offset:         16
        .size:           8
        .value_kind:     global_buffer
      - .address_space:  global
        .offset:         24
        .size:           8
        .value_kind:     global_buffer
      - .offset:         32
        .size:           4
        .value_kind:     hidden_block_count_x
      - .offset:         36
        .size:           4
        .value_kind:     hidden_block_count_y
      - .offset:         40
        .size:           4
        .value_kind:     hidden_block_count_z
      - .offset:         44
        .size:           2
        .value_kind:     hidden_group_size_x
      - .offset:         46
        .size:           2
        .value_kind:     hidden_group_size_y
      - .offset:         48
        .size:           2
        .value_kind:     hidden_group_size_z
      - .offset:         50
        .size:           2
        .value_kind:     hidden_remainder_x
      - .offset:         52
        .size:           2
        .value_kind:     hidden_remainder_y
      - .offset:         54
        .size:           2
        .value_kind:     hidden_remainder_z
      - .offset:         72
        .size:           8
        .value_kind:     hidden_global_offset_x
      - .offset:         80
        .size:           8
        .value_kind:     hidden_global_offset_y
      - .offset:         88
        .size:           8
        .value_kind:     hidden_global_offset_z
      - .offset:         96
        .size:           2
        .value_kind:     hidden_grid_dims
    .group_segment_fixed_size: 0
    .kernarg_segment_align: 8
    .kernarg_segment_size: 288
    .language:       OpenCL C
    .language_version:
      - 2
      - 0
    .max_flat_workgroup_size: 1024
    .name:           _Z26kernel_reset_random_gpupcgPiiPmS0_
    .private_segment_fixed_size: 0
    .sgpr_count:     14
    .sgpr_spill_count: 0
    .symbol:         _Z26kernel_reset_random_gpupcgPiiPmS0_.kd
    .uniform_work_group_size: 1
    .uses_dynamic_stack: false
    .vgpr_count:     22
    .vgpr_spill_count: 0
    .wavefront_size: 32
    .workgroup_processor_mode: 1
  - .args:
      - .address_space:  global
        .offset:         0
        .size:           8
        .value_kind:     global_buffer
      - .offset:         8
        .size:           4
        .value_kind:     by_value
      - .offset:         12
        .size:           4
        .value_kind:     by_value
      - .offset:         16
        .size:           4
        .value_kind:     hidden_block_count_x
      - .offset:         20
        .size:           4
        .value_kind:     hidden_block_count_y
      - .offset:         24
        .size:           4
        .value_kind:     hidden_block_count_z
      - .offset:         28
        .size:           2
        .value_kind:     hidden_group_size_x
      - .offset:         30
        .size:           2
        .value_kind:     hidden_group_size_y
      - .offset:         32
        .size:           2
        .value_kind:     hidden_group_size_z
      - .offset:         34
        .size:           2
        .value_kind:     hidden_remainder_x
      - .offset:         36
        .size:           2
        .value_kind:     hidden_remainder_y
      - .offset:         38
        .size:           2
        .value_kind:     hidden_remainder_z
      - .offset:         56
        .size:           8
        .value_kind:     hidden_global_offset_x
      - .offset:         64
        .size:           8
        .value_kind:     hidden_global_offset_y
      - .offset:         72
        .size:           8
        .value_kind:     hidden_global_offset_z
      - .offset:         80
        .size:           2
        .value_kind:     hidden_grid_dims
    .group_segment_fixed_size: 0
    .kernarg_segment_align: 8
    .kernarg_segment_size: 272
    .language:       OpenCL C
    .language_version:
      - 2
      - 0
    .max_flat_workgroup_size: 1024
    .name:           _Z12kernel_resetIiEvPT_iS0_
    .private_segment_fixed_size: 0
    .sgpr_count:     9
    .sgpr_spill_count: 0
    .symbol:         _Z12kernel_resetIiEvPT_iS0_.kd
    .uniform_work_group_size: 1
    .uses_dynamic_stack: false
    .vgpr_count:     3
    .vgpr_spill_count: 0
    .wavefront_size: 32
    .workgroup_processor_mode: 1
  - .args:
      - .address_space:  global
        .offset:         0
        .size:           8
        .value_kind:     global_buffer
      - .offset:         8
        .size:           4
        .value_kind:     by_value
      - .offset:         12
        .size:           4
        .value_kind:     by_value
      - .offset:         16
        .size:           4
        .value_kind:     hidden_block_count_x
      - .offset:         20
        .size:           4
        .value_kind:     hidden_block_count_y
      - .offset:         24
        .size:           4
        .value_kind:     hidden_block_count_z
      - .offset:         28
        .size:           2
        .value_kind:     hidden_group_size_x
      - .offset:         30
        .size:           2
        .value_kind:     hidden_group_size_y
      - .offset:         32
        .size:           2
        .value_kind:     hidden_group_size_z
      - .offset:         34
        .size:           2
        .value_kind:     hidden_remainder_x
      - .offset:         36
        .size:           2
        .value_kind:     hidden_remainder_y
      - .offset:         38
        .size:           2
        .value_kind:     hidden_remainder_z
      - .offset:         56
        .size:           8
        .value_kind:     hidden_global_offset_x
      - .offset:         64
        .size:           8
        .value_kind:     hidden_global_offset_y
      - .offset:         72
        .size:           8
        .value_kind:     hidden_global_offset_z
      - .offset:         80
        .size:           2
        .value_kind:     hidden_grid_dims
    .group_segment_fixed_size: 0
    .kernarg_segment_align: 8
    .kernarg_segment_size: 272
    .language:       OpenCL C
    .language_version:
      - 2
      - 0
    .max_flat_workgroup_size: 1024
    .name:           _Z12kernel_resetIfEvPT_iS0_
    .private_segment_fixed_size: 0
    .sgpr_count:     9
    .sgpr_spill_count: 0
    .symbol:         _Z12kernel_resetIfEvPT_iS0_.kd
    .uniform_work_group_size: 1
    .uses_dynamic_stack: false
    .vgpr_count:     3
    .vgpr_spill_count: 0
    .wavefront_size: 32
    .workgroup_processor_mode: 1
  - .args:
      - .address_space:  global
        .offset:         0
        .size:           8
        .value_kind:     global_buffer
      - .offset:         8
        .size:           4
        .value_kind:     by_value
      - .address_space:  global
        .offset:         16
        .size:           8
        .value_kind:     global_buffer
      - .address_space:  global
        .offset:         24
        .size:           8
        .value_kind:     global_buffer
      - .offset:         32
        .size:           4
        .value_kind:     by_value
      - .offset:         40
        .size:           4
        .value_kind:     hidden_block_count_x
      - .offset:         44
        .size:           4
        .value_kind:     hidden_block_count_y
      - .offset:         48
        .size:           4
        .value_kind:     hidden_block_count_z
      - .offset:         52
        .size:           2
        .value_kind:     hidden_group_size_x
      - .offset:         54
        .size:           2
        .value_kind:     hidden_group_size_y
      - .offset:         56
        .size:           2
        .value_kind:     hidden_group_size_z
      - .offset:         58
        .size:           2
        .value_kind:     hidden_remainder_x
      - .offset:         60
        .size:           2
        .value_kind:     hidden_remainder_y
      - .offset:         62
        .size:           2
        .value_kind:     hidden_remainder_z
      - .offset:         80
        .size:           8
        .value_kind:     hidden_global_offset_x
      - .offset:         88
        .size:           8
        .value_kind:     hidden_global_offset_y
      - .offset:         96
        .size:           8
        .value_kind:     hidden_global_offset_z
      - .offset:         104
        .size:           2
        .value_kind:     hidden_grid_dims
    .group_segment_fixed_size: 128
    .kernarg_segment_align: 8
    .kernarg_segment_size: 296
    .language:       OpenCL C
    .language_version:
      - 2
      - 0
    .max_flat_workgroup_size: 1024
    .name:           _Z16kernel_redenergyIfEvPKiiPT_S1_f
    .private_segment_fixed_size: 0
    .sgpr_count:     16
    .sgpr_spill_count: 0
    .symbol:         _Z16kernel_redenergyIfEvPKiiPT_S1_f.kd
    .uniform_work_group_size: 1
    .uses_dynamic_stack: false
    .vgpr_count:     13
    .vgpr_spill_count: 0
    .wavefront_size: 32
    .workgroup_processor_mode: 1
amdhsa.target:   amdgcn-amd-amdhsa--gfx1030
amdhsa.version:
  - 1
  - 2
...

	.end_amdgpu_metadata
